;; amdgpu-corpus repo=zjin-lcf/HeCBench kind=compiled arch=gfx906 opt=O3
	.amdgcn_target "amdgcn-amd-amdhsa--gfx906"
	.amdhsa_code_object_version 6
	.text
	.protected	_Z13compute_probsPKdS0_Pdiii ; -- Begin function _Z13compute_probsPKdS0_Pdiii
	.globl	_Z13compute_probsPKdS0_Pdiii
	.p2align	8
	.type	_Z13compute_probsPKdS0_Pdiii,@function
_Z13compute_probsPKdS0_Pdiii:           ; @_Z13compute_probsPKdS0_Pdiii
; %bb.0:
	s_add_u32 s0, s0, s7
	s_load_dword s7, s[4:5], 0x34
	s_load_dwordx4 s[12:15], s[4:5], 0x18
	s_addc_u32 s1, s1, 0
	s_waitcnt lgkmcnt(0)
	s_and_b32 s7, s7, 0xffff
	s_mul_i32 s6, s6, s7
	v_add_u32_e32 v0, s6, v0
	v_cmp_gt_i32_e32 vcc, s12, v0
	s_and_saveexec_b64 s[6:7], vcc
	s_cbranch_execz .LBB0_17
; %bb.1:
	s_load_dwordx2 s[10:11], s[4:5], 0x10
	v_mul_lo_u32 v0, v0, s13
	s_cmp_gt_i32 s13, 0
	s_cselect_b64 s[6:7], -1, 0
	s_cmp_lt_i32 s13, 1
	v_ashrrev_i32_e32 v1, 31, v0
	s_cbranch_scc1 .LBB0_4
; %bb.2:
	v_lshlrev_b64 v[2:3], 3, v[0:1]
	s_waitcnt lgkmcnt(0)
	v_mov_b32_e32 v4, s11
	v_add_co_u32_e32 v2, vcc, s10, v2
	v_addc_co_u32_e32 v3, vcc, v4, v3, vcc
	v_mov_b32_e32 v4, 0
	v_mov_b32_e32 v5, v4
	s_mov_b32 s8, s13
.LBB0_3:                                ; =>This Inner Loop Header: Depth=1
	global_store_dwordx2 v[2:3], v[4:5], off
	s_add_i32 s8, s8, -1
	v_add_co_u32_e32 v2, vcc, 8, v2
	s_cmp_eq_u32 s8, 0
	v_addc_co_u32_e32 v3, vcc, 0, v3, vcc
	s_cbranch_scc0 .LBB0_3
.LBB0_4:
	v_cndmask_b32_e64 v2, 0, 1, s[6:7]
	s_cmp_lt_i32 s14, 1
	v_cmp_ne_u32_e64 s[8:9], 1, v2
	s_cbranch_scc1 .LBB0_14
; %bb.5:
	s_load_dwordx4 s[16:19], s[4:5], 0x0
	s_add_i32 s12, s13, -1
	s_lshl_b32 s4, s12, 3
	v_lshlrev_b64 v[2:3], 3, v[0:1]
	s_cmp_gt_i32 s13, 1
	s_waitcnt lgkmcnt(0)
	v_mov_b32_e32 v4, s17
	v_add_co_u32_e32 v2, vcc, s16, v2
	s_cselect_b64 s[6:7], -1, 0
	v_addc_co_u32_e32 v3, vcc, v4, v3, vcc
	s_mov_b32 s5, 0
	v_cndmask_b32_e64 v4, 0, 1, s[6:7]
	v_mov_b32_e32 v8, s4
	v_cmp_ne_u32_e64 s[6:7], 1, v4
	v_mov_b32_e32 v9, s11
	s_mov_b32 s4, s5
	s_mov_b32 s15, s5
                                        ; implicit-def: $vgpr4_vgpr5
	s_branch .LBB0_7
.LBB0_6:                                ;   in Loop: Header=BB0_7 Depth=1
	v_add_u32_e32 v6, v10, v0
	v_ashrrev_i32_e32 v7, 31, v6
	v_lshlrev_b64 v[6:7], 3, v[6:7]
	s_add_i32 s15, s15, 1
	v_add_co_u32_e32 v6, vcc, s10, v6
	v_addc_co_u32_e32 v7, vcc, v9, v7, vcc
	global_load_dwordx2 v[10:11], v[6:7], off
	s_add_i32 s4, s4, s13
	s_cmp_eq_u32 s15, s14
	s_waitcnt vmcnt(0)
	v_add_f64 v[10:11], v[10:11], 1.0
	global_store_dwordx2 v[6:7], v[10:11], off
	s_cbranch_scc1 .LBB0_14
.LBB0_7:                                ; =>This Loop Header: Depth=1
                                        ;     Child Loop BB0_9 Depth 2
                                        ;     Child Loop BB0_13 Depth 2
	s_and_b64 vcc, exec, s[8:9]
	s_cbranch_vccnz .LBB0_11
; %bb.8:                                ;   in Loop: Header=BB0_7 Depth=1
	s_lshl_b64 s[16:17], s[4:5], 3
	s_add_u32 s16, s18, s16
	v_mov_b32_e32 v5, v3
	s_addc_u32 s17, s19, s17
	s_mov_b32 s20, 0
	v_mov_b32_e32 v4, v2
	s_mov_b32 s21, s13
.LBB0_9:                                ;   Parent Loop BB0_7 Depth=1
                                        ; =>  This Inner Loop Header: Depth=2
	global_load_dwordx2 v[6:7], v[4:5], off
	s_load_dwordx2 s[22:23], s[16:17], 0x0
	s_add_i32 s21, s21, -1
	s_add_u32 s16, s16, 8
	v_mov_b32_e32 v10, s20
	v_add_co_u32_e32 v4, vcc, 8, v4
	s_addc_u32 s17, s17, 0
	s_add_i32 s20, s20, 8
	v_addc_co_u32_e32 v5, vcc, 0, v5, vcc
	s_cmp_lg_u32 s21, 0
	s_waitcnt vmcnt(0) lgkmcnt(0)
	v_add_f64 v[6:7], v[6:7], s[22:23]
	buffer_store_dword v7, v10, s[0:3], 0 offen offset:4
	buffer_store_dword v6, v10, s[0:3], 0 offen
	s_cbranch_scc1 .LBB0_9
; %bb.10:                               ;   in Loop: Header=BB0_7 Depth=1
	buffer_load_dword v4, v8, s[0:3], 0 offen
	buffer_load_dword v5, v8, s[0:3], 0 offen offset:4
.LBB0_11:                               ;   in Loop: Header=BB0_7 Depth=1
	s_and_b64 vcc, exec, s[6:7]
	v_mov_b32_e32 v10, s12
	s_cbranch_vccnz .LBB0_6
; %bb.12:                               ;   in Loop: Header=BB0_7 Depth=1
	s_waitcnt vmcnt(0)
	v_mov_b32_e32 v7, v5
	s_mov_b32 s16, 0
	s_mov_b32 s17, 0
	v_mov_b32_e32 v10, s12
	v_mov_b32_e32 v6, v4
.LBB0_13:                               ;   Parent Loop BB0_7 Depth=1
                                        ; =>  This Inner Loop Header: Depth=2
	v_mov_b32_e32 v13, s16
	buffer_load_dword v11, v13, s[0:3], 0 offen
	buffer_load_dword v12, v13, s[0:3], 0 offen offset:4
	v_mov_b32_e32 v13, s17
	s_add_i32 s17, s17, 1
	s_add_i32 s16, s16, 8
	s_cmp_lg_u32 s12, s17
	s_waitcnt vmcnt(0)
	v_cmp_gt_f64_e32 vcc, v[11:12], v[6:7]
	v_cndmask_b32_e32 v10, v10, v13, vcc
	v_cndmask_b32_e32 v7, v7, v12, vcc
	;; [unrolled: 1-line block ×3, first 2 shown]
	s_cbranch_scc1 .LBB0_13
	s_branch .LBB0_6
.LBB0_14:
	s_and_b64 vcc, exec, s[8:9]
	s_cbranch_vccnz .LBB0_17
; %bb.15:
	v_cvt_f64_i32_e32 v[2:3], s14
	v_lshlrev_b64 v[0:1], 3, v[0:1]
	s_waitcnt lgkmcnt(0)
	v_mov_b32_e32 v4, s11
	v_add_co_u32_e32 v0, vcc, s10, v0
	v_addc_co_u32_e32 v1, vcc, v4, v1, vcc
.LBB0_16:                               ; =>This Inner Loop Header: Depth=1
	global_load_dwordx2 v[4:5], v[0:1], off
	s_add_i32 s13, s13, -1
	s_cmp_lg_u32 s13, 0
	s_waitcnt vmcnt(0)
	v_div_scale_f64 v[6:7], s[4:5], v[2:3], v[2:3], v[4:5]
	v_rcp_f64_e32 v[8:9], v[6:7]
	v_fma_f64 v[10:11], -v[6:7], v[8:9], 1.0
	v_fma_f64 v[8:9], v[8:9], v[10:11], v[8:9]
	v_div_scale_f64 v[10:11], vcc, v[4:5], v[2:3], v[4:5]
	v_fma_f64 v[12:13], -v[6:7], v[8:9], 1.0
	v_fma_f64 v[8:9], v[8:9], v[12:13], v[8:9]
	v_mul_f64 v[12:13], v[10:11], v[8:9]
	v_fma_f64 v[6:7], -v[6:7], v[12:13], v[10:11]
	v_div_fmas_f64 v[6:7], v[6:7], v[8:9], v[12:13]
	v_div_fixup_f64 v[4:5], v[6:7], v[2:3], v[4:5]
	global_store_dwordx2 v[0:1], v[4:5], off
	v_add_co_u32_e32 v0, vcc, 8, v0
	v_addc_co_u32_e32 v1, vcc, 0, v1, vcc
	s_cbranch_scc1 .LBB0_16
.LBB0_17:
	s_endpgm
	.section	.rodata,"a",@progbits
	.p2align	6, 0x0
	.amdhsa_kernel _Z13compute_probsPKdS0_Pdiii
		.amdhsa_group_segment_fixed_size 0
		.amdhsa_private_segment_fixed_size 176
		.amdhsa_kernarg_size 296
		.amdhsa_user_sgpr_count 6
		.amdhsa_user_sgpr_private_segment_buffer 1
		.amdhsa_user_sgpr_dispatch_ptr 0
		.amdhsa_user_sgpr_queue_ptr 0
		.amdhsa_user_sgpr_kernarg_segment_ptr 1
		.amdhsa_user_sgpr_dispatch_id 0
		.amdhsa_user_sgpr_flat_scratch_init 0
		.amdhsa_user_sgpr_private_segment_size 0
		.amdhsa_uses_dynamic_stack 0
		.amdhsa_system_sgpr_private_segment_wavefront_offset 1
		.amdhsa_system_sgpr_workgroup_id_x 1
		.amdhsa_system_sgpr_workgroup_id_y 0
		.amdhsa_system_sgpr_workgroup_id_z 0
		.amdhsa_system_sgpr_workgroup_info 0
		.amdhsa_system_vgpr_workitem_id 0
		.amdhsa_next_free_vgpr 14
		.amdhsa_next_free_sgpr 24
		.amdhsa_reserve_vcc 1
		.amdhsa_reserve_flat_scratch 0
		.amdhsa_float_round_mode_32 0
		.amdhsa_float_round_mode_16_64 0
		.amdhsa_float_denorm_mode_32 3
		.amdhsa_float_denorm_mode_16_64 3
		.amdhsa_dx10_clamp 1
		.amdhsa_ieee_mode 1
		.amdhsa_fp16_overflow 0
		.amdhsa_exception_fp_ieee_invalid_op 0
		.amdhsa_exception_fp_denorm_src 0
		.amdhsa_exception_fp_ieee_div_zero 0
		.amdhsa_exception_fp_ieee_overflow 0
		.amdhsa_exception_fp_ieee_underflow 0
		.amdhsa_exception_fp_ieee_inexact 0
		.amdhsa_exception_int_div_zero 0
	.end_amdhsa_kernel
	.text
.Lfunc_end0:
	.size	_Z13compute_probsPKdS0_Pdiii, .Lfunc_end0-_Z13compute_probsPKdS0_Pdiii
                                        ; -- End function
	.set _Z13compute_probsPKdS0_Pdiii.num_vgpr, 14
	.set _Z13compute_probsPKdS0_Pdiii.num_agpr, 0
	.set _Z13compute_probsPKdS0_Pdiii.numbered_sgpr, 24
	.set _Z13compute_probsPKdS0_Pdiii.num_named_barrier, 0
	.set _Z13compute_probsPKdS0_Pdiii.private_seg_size, 176
	.set _Z13compute_probsPKdS0_Pdiii.uses_vcc, 1
	.set _Z13compute_probsPKdS0_Pdiii.uses_flat_scratch, 0
	.set _Z13compute_probsPKdS0_Pdiii.has_dyn_sized_stack, 0
	.set _Z13compute_probsPKdS0_Pdiii.has_recursion, 0
	.set _Z13compute_probsPKdS0_Pdiii.has_indirect_call, 0
	.section	.AMDGPU.csdata,"",@progbits
; Kernel info:
; codeLenInByte = 732
; TotalNumSgprs: 28
; NumVgprs: 14
; ScratchSize: 176
; MemoryBound: 0
; FloatMode: 240
; IeeeMode: 1
; LDSByteSize: 0 bytes/workgroup (compile time only)
; SGPRBlocks: 3
; VGPRBlocks: 3
; NumSGPRsForWavesPerEU: 28
; NumVGPRsForWavesPerEU: 14
; Occupancy: 10
; WaveLimiterHint : 0
; COMPUTE_PGM_RSRC2:SCRATCH_EN: 1
; COMPUTE_PGM_RSRC2:USER_SGPR: 6
; COMPUTE_PGM_RSRC2:TRAP_HANDLER: 0
; COMPUTE_PGM_RSRC2:TGID_X_EN: 1
; COMPUTE_PGM_RSRC2:TGID_Y_EN: 0
; COMPUTE_PGM_RSRC2:TGID_Z_EN: 0
; COMPUTE_PGM_RSRC2:TIDIG_COMP_CNT: 0
	.text
	.protected	_Z25compute_probs_unitStridesPKdS0_Pdiii ; -- Begin function _Z25compute_probs_unitStridesPKdS0_Pdiii
	.globl	_Z25compute_probs_unitStridesPKdS0_Pdiii
	.p2align	8
	.type	_Z25compute_probs_unitStridesPKdS0_Pdiii,@function
_Z25compute_probs_unitStridesPKdS0_Pdiii: ; @_Z25compute_probs_unitStridesPKdS0_Pdiii
; %bb.0:
	s_add_u32 s0, s0, s7
	s_load_dword s7, s[4:5], 0x34
	s_load_dwordx4 s[12:15], s[4:5], 0x18
	s_addc_u32 s1, s1, 0
	s_waitcnt lgkmcnt(0)
	s_and_b32 s7, s7, 0xffff
	s_mul_i32 s6, s6, s7
	v_add_u32_e32 v0, s6, v0
	v_cmp_gt_i32_e32 vcc, s12, v0
	s_and_saveexec_b64 s[6:7], vcc
	s_cbranch_execz .LBB1_17
; %bb.1:
	s_load_dwordx2 s[10:11], s[4:5], 0x10
	s_cmp_gt_i32 s13, 0
	s_cselect_b64 s[6:7], -1, 0
	s_cmp_lt_i32 s13, 1
	s_cbranch_scc1 .LBB1_4
; %bb.2:
	v_mov_b32_e32 v1, 0
	s_waitcnt lgkmcnt(0)
	v_mov_b32_e32 v5, s11
	v_mov_b32_e32 v2, v1
	;; [unrolled: 1-line block ×3, first 2 shown]
	s_mov_b32 s8, s13
.LBB1_3:                                ; =>This Inner Loop Header: Depth=1
	v_ashrrev_i32_e32 v4, 31, v3
	v_lshlrev_b64 v[6:7], 3, v[3:4]
	s_add_i32 s8, s8, -1
	v_add_co_u32_e32 v6, vcc, s10, v6
	v_addc_co_u32_e32 v7, vcc, v5, v7, vcc
	s_cmp_eq_u32 s8, 0
	v_add_u32_e32 v3, s12, v3
	global_store_dwordx2 v[6:7], v[1:2], off
	s_cbranch_scc0 .LBB1_3
.LBB1_4:
	v_cndmask_b32_e64 v1, 0, 1, s[6:7]
	s_cmp_lt_i32 s14, 1
	v_cmp_ne_u32_e64 s[8:9], 1, v1
	s_cbranch_scc1 .LBB1_14
; %bb.5:
	s_add_i32 s22, s13, -1
	s_load_dwordx4 s[16:19], s[4:5], 0x0
	s_lshl_b32 s4, s22, 3
	s_cmp_gt_i32 s13, 1
	s_cselect_b64 s[6:7], -1, 0
	s_mov_b32 s15, 0
	v_cndmask_b32_e64 v1, 0, 1, s[6:7]
	v_mov_b32_e32 v5, s4
	s_lshl_b64 s[4:5], s[14:15], 3
	v_cmp_ne_u32_e64 s[6:7], 1, v1
	s_waitcnt lgkmcnt(0)
	v_mov_b32_e32 v6, s11
                                        ; implicit-def: $vgpr1_vgpr2
	s_branch .LBB1_7
.LBB1_6:                                ;   in Loop: Header=BB1_7 Depth=1
	s_waitcnt vmcnt(1)
	v_mad_u64_u32 v[3:4], s[20:21], v7, s12, v[0:1]
	s_add_i32 s15, s15, 1
	s_add_u32 s18, s18, 8
	v_ashrrev_i32_e32 v4, 31, v3
	v_lshlrev_b64 v[3:4], 3, v[3:4]
	s_addc_u32 s19, s19, 0
	v_add_co_u32_e32 v3, vcc, s10, v3
	v_addc_co_u32_e32 v4, vcc, v6, v4, vcc
	global_load_dwordx2 v[7:8], v[3:4], off
	s_cmp_eq_u32 s15, s14
	s_waitcnt vmcnt(0)
	v_add_f64 v[7:8], v[7:8], 1.0
	global_store_dwordx2 v[3:4], v[7:8], off
	s_cbranch_scc1 .LBB1_14
.LBB1_7:                                ; =>This Loop Header: Depth=1
                                        ;     Child Loop BB1_9 Depth 2
                                        ;     Child Loop BB1_13 Depth 2
	s_and_b64 vcc, exec, s[8:9]
	s_cbranch_vccnz .LBB1_11
; %bb.8:                                ;   in Loop: Header=BB1_7 Depth=1
	s_mov_b32 s23, 0
	v_mov_b32_e32 v1, v0
	s_mov_b64 s[20:21], s[18:19]
	s_mov_b32 s24, s13
.LBB1_9:                                ;   Parent Loop BB1_7 Depth=1
                                        ; =>  This Inner Loop Header: Depth=2
	v_ashrrev_i32_e32 v2, 31, v1
	v_lshlrev_b64 v[2:3], 3, v[1:2]
	v_mov_b32_e32 v4, s17
	v_add_co_u32_e32 v2, vcc, s16, v2
	v_addc_co_u32_e32 v3, vcc, v4, v3, vcc
	global_load_dwordx2 v[2:3], v[2:3], off
	s_load_dwordx2 s[26:27], s[20:21], 0x0
	s_add_i32 s24, s24, -1
	s_add_u32 s20, s20, s4
	v_mov_b32_e32 v4, s23
	s_addc_u32 s21, s21, s5
	s_add_i32 s23, s23, 8
	v_add_u32_e32 v1, s12, v1
	s_cmp_lg_u32 s24, 0
	s_waitcnt vmcnt(0) lgkmcnt(0)
	v_add_f64 v[2:3], v[2:3], s[26:27]
	buffer_store_dword v3, v4, s[0:3], 0 offen offset:4
	buffer_store_dword v2, v4, s[0:3], 0 offen
	s_cbranch_scc1 .LBB1_9
; %bb.10:                               ;   in Loop: Header=BB1_7 Depth=1
	buffer_load_dword v1, v5, s[0:3], 0 offen
	buffer_load_dword v2, v5, s[0:3], 0 offen offset:4
.LBB1_11:                               ;   in Loop: Header=BB1_7 Depth=1
	s_and_b64 vcc, exec, s[6:7]
	v_mov_b32_e32 v7, s22
	s_cbranch_vccnz .LBB1_6
; %bb.12:                               ;   in Loop: Header=BB1_7 Depth=1
	s_waitcnt vmcnt(0)
	v_mov_b32_e32 v4, v2
	s_mov_b32 s20, 0
	s_mov_b32 s21, 0
	v_mov_b32_e32 v7, s22
	v_mov_b32_e32 v3, v1
.LBB1_13:                               ;   Parent Loop BB1_7 Depth=1
                                        ; =>  This Inner Loop Header: Depth=2
	v_mov_b32_e32 v10, s20
	buffer_load_dword v8, v10, s[0:3], 0 offen
	buffer_load_dword v9, v10, s[0:3], 0 offen offset:4
	v_mov_b32_e32 v10, s21
	s_add_i32 s21, s21, 1
	s_add_i32 s20, s20, 8
	s_cmp_lg_u32 s22, s21
	s_waitcnt vmcnt(0)
	v_cmp_gt_f64_e32 vcc, v[8:9], v[3:4]
	v_cndmask_b32_e32 v7, v7, v10, vcc
	v_cndmask_b32_e32 v4, v4, v9, vcc
	v_cndmask_b32_e32 v3, v3, v8, vcc
	s_cbranch_scc1 .LBB1_13
	s_branch .LBB1_6
.LBB1_14:
	s_and_b64 vcc, exec, s[8:9]
	s_cbranch_vccnz .LBB1_17
; %bb.15:
	v_cvt_f64_i32_e32 v[2:3], s14
	s_waitcnt lgkmcnt(0)
	v_mov_b32_e32 v4, s11
.LBB1_16:                               ; =>This Inner Loop Header: Depth=1
	v_ashrrev_i32_e32 v1, 31, v0
	v_lshlrev_b64 v[5:6], 3, v[0:1]
	s_add_i32 s13, s13, -1
	v_add_co_u32_e32 v5, vcc, s10, v5
	v_addc_co_u32_e32 v6, vcc, v4, v6, vcc
	global_load_dwordx2 v[7:8], v[5:6], off
	s_cmp_lg_u32 s13, 0
	v_add_u32_e32 v0, s12, v0
	s_waitcnt vmcnt(0)
	v_div_scale_f64 v[9:10], s[4:5], v[2:3], v[2:3], v[7:8]
	v_rcp_f64_e32 v[11:12], v[9:10]
	v_fma_f64 v[13:14], -v[9:10], v[11:12], 1.0
	v_fma_f64 v[11:12], v[11:12], v[13:14], v[11:12]
	v_div_scale_f64 v[13:14], vcc, v[7:8], v[2:3], v[7:8]
	v_fma_f64 v[15:16], -v[9:10], v[11:12], 1.0
	v_fma_f64 v[11:12], v[11:12], v[15:16], v[11:12]
	v_mul_f64 v[15:16], v[13:14], v[11:12]
	v_fma_f64 v[9:10], -v[9:10], v[15:16], v[13:14]
	v_div_fmas_f64 v[9:10], v[9:10], v[11:12], v[15:16]
	v_div_fixup_f64 v[7:8], v[9:10], v[2:3], v[7:8]
	global_store_dwordx2 v[5:6], v[7:8], off
	s_cbranch_scc1 .LBB1_16
.LBB1_17:
	s_endpgm
	.section	.rodata,"a",@progbits
	.p2align	6, 0x0
	.amdhsa_kernel _Z25compute_probs_unitStridesPKdS0_Pdiii
		.amdhsa_group_segment_fixed_size 0
		.amdhsa_private_segment_fixed_size 176
		.amdhsa_kernarg_size 296
		.amdhsa_user_sgpr_count 6
		.amdhsa_user_sgpr_private_segment_buffer 1
		.amdhsa_user_sgpr_dispatch_ptr 0
		.amdhsa_user_sgpr_queue_ptr 0
		.amdhsa_user_sgpr_kernarg_segment_ptr 1
		.amdhsa_user_sgpr_dispatch_id 0
		.amdhsa_user_sgpr_flat_scratch_init 0
		.amdhsa_user_sgpr_private_segment_size 0
		.amdhsa_uses_dynamic_stack 0
		.amdhsa_system_sgpr_private_segment_wavefront_offset 1
		.amdhsa_system_sgpr_workgroup_id_x 1
		.amdhsa_system_sgpr_workgroup_id_y 0
		.amdhsa_system_sgpr_workgroup_id_z 0
		.amdhsa_system_sgpr_workgroup_info 0
		.amdhsa_system_vgpr_workitem_id 0
		.amdhsa_next_free_vgpr 17
		.amdhsa_next_free_sgpr 28
		.amdhsa_reserve_vcc 1
		.amdhsa_reserve_flat_scratch 0
		.amdhsa_float_round_mode_32 0
		.amdhsa_float_round_mode_16_64 0
		.amdhsa_float_denorm_mode_32 3
		.amdhsa_float_denorm_mode_16_64 3
		.amdhsa_dx10_clamp 1
		.amdhsa_ieee_mode 1
		.amdhsa_fp16_overflow 0
		.amdhsa_exception_fp_ieee_invalid_op 0
		.amdhsa_exception_fp_denorm_src 0
		.amdhsa_exception_fp_ieee_div_zero 0
		.amdhsa_exception_fp_ieee_overflow 0
		.amdhsa_exception_fp_ieee_underflow 0
		.amdhsa_exception_fp_ieee_inexact 0
		.amdhsa_exception_int_div_zero 0
	.end_amdhsa_kernel
	.text
.Lfunc_end1:
	.size	_Z25compute_probs_unitStridesPKdS0_Pdiii, .Lfunc_end1-_Z25compute_probs_unitStridesPKdS0_Pdiii
                                        ; -- End function
	.set _Z25compute_probs_unitStridesPKdS0_Pdiii.num_vgpr, 17
	.set _Z25compute_probs_unitStridesPKdS0_Pdiii.num_agpr, 0
	.set _Z25compute_probs_unitStridesPKdS0_Pdiii.numbered_sgpr, 28
	.set _Z25compute_probs_unitStridesPKdS0_Pdiii.num_named_barrier, 0
	.set _Z25compute_probs_unitStridesPKdS0_Pdiii.private_seg_size, 176
	.set _Z25compute_probs_unitStridesPKdS0_Pdiii.uses_vcc, 1
	.set _Z25compute_probs_unitStridesPKdS0_Pdiii.uses_flat_scratch, 0
	.set _Z25compute_probs_unitStridesPKdS0_Pdiii.has_dyn_sized_stack, 0
	.set _Z25compute_probs_unitStridesPKdS0_Pdiii.has_recursion, 0
	.set _Z25compute_probs_unitStridesPKdS0_Pdiii.has_indirect_call, 0
	.section	.AMDGPU.csdata,"",@progbits
; Kernel info:
; codeLenInByte = 720
; TotalNumSgprs: 32
; NumVgprs: 17
; ScratchSize: 176
; MemoryBound: 0
; FloatMode: 240
; IeeeMode: 1
; LDSByteSize: 0 bytes/workgroup (compile time only)
; SGPRBlocks: 3
; VGPRBlocks: 4
; NumSGPRsForWavesPerEU: 32
; NumVGPRsForWavesPerEU: 17
; Occupancy: 10
; WaveLimiterHint : 0
; COMPUTE_PGM_RSRC2:SCRATCH_EN: 1
; COMPUTE_PGM_RSRC2:USER_SGPR: 6
; COMPUTE_PGM_RSRC2:TRAP_HANDLER: 0
; COMPUTE_PGM_RSRC2:TGID_X_EN: 1
; COMPUTE_PGM_RSRC2:TGID_Y_EN: 0
; COMPUTE_PGM_RSRC2:TGID_Z_EN: 0
; COMPUTE_PGM_RSRC2:TIDIG_COMP_CNT: 0
	.text
	.protected	_Z35compute_probs_unitStrides_sharedMemPKdS0_Pdiii ; -- Begin function _Z35compute_probs_unitStrides_sharedMemPKdS0_Pdiii
	.globl	_Z35compute_probs_unitStrides_sharedMemPKdS0_Pdiii
	.p2align	8
	.type	_Z35compute_probs_unitStrides_sharedMemPKdS0_Pdiii,@function
_Z35compute_probs_unitStrides_sharedMemPKdS0_Pdiii: ; @_Z35compute_probs_unitStrides_sharedMemPKdS0_Pdiii
; %bb.0:
	s_load_dword s0, s[4:5], 0x34
	s_load_dwordx4 s[8:11], s[4:5], 0x18
	s_waitcnt lgkmcnt(0)
	s_and_b32 s18, s0, 0xffff
	s_mul_i32 s6, s6, s18
	v_add_u32_e32 v1, s6, v0
	v_cmp_gt_i32_e32 vcc, s8, v1
	s_and_saveexec_b64 s[0:1], vcc
	s_cbranch_execz .LBB2_18
; %bb.1:
	s_cmp_gt_i32 s9, 0
	s_cselect_b64 s[0:1], -1, 0
	s_cmp_lt_i32 s9, 1
	v_lshl_add_u32 v4, v0, 3, 0
	s_cbranch_scc1 .LBB2_4
; %bb.2:
	v_mov_b32_e32 v2, 0
	s_lshl_b32 s2, s18, 3
	v_mov_b32_e32 v3, v2
	v_mov_b32_e32 v5, v4
	s_mov_b32 s3, s9
.LBB2_3:                                ; =>This Inner Loop Header: Depth=1
	s_add_i32 s3, s3, -1
	ds_write_b64 v5, v[2:3]
	s_cmp_eq_u32 s3, 0
	v_add_u32_e32 v5, s2, v5
	s_cbranch_scc0 .LBB2_3
.LBB2_4:
	v_cndmask_b32_e64 v2, 0, 1, s[0:1]
	s_cmp_lt_i32 s10, 1
	v_cmp_ne_u32_e64 s[0:1], 1, v2
	s_cbranch_scc1 .LBB2_13
; %bb.5:
	s_mul_i32 s2, s9, s18
	s_lshl_b32 s3, s2, 3
	s_load_dwordx4 s[12:15], s[4:5], 0x0
	s_add_i32 s3, s3, 0
	s_add_i32 s19, s9, -1
	s_sub_i32 s20, s2, s18
	s_cmp_gt_i32 s9, 1
	v_lshl_add_u32 v0, v0, 3, s3
	s_cselect_b64 s[2:3], -1, 0
	s_mov_b32 s11, 0
	v_cndmask_b32_e64 v2, 0, 1, s[2:3]
	v_lshl_add_u32 v5, s20, 3, v0
	s_lshl_b32 s21, s18, 3
	s_lshl_b64 s[6:7], s[10:11], 3
	v_cmp_ne_u32_e64 s[2:3], 1, v2
	s_branch .LBB2_7
.LBB2_6:                                ;   in Loop: Header=BB2_7 Depth=1
	v_lshl_add_u32 v6, v2, 3, v4
	ds_read_b64 v[2:3], v6
	s_add_i32 s11, s11, 1
	s_add_u32 s14, s14, 8
	s_addc_u32 s15, s15, 0
	s_cmp_eq_u32 s11, s10
	s_waitcnt lgkmcnt(0)
	v_add_f64 v[2:3], v[2:3], 1.0
	ds_write_b64 v6, v[2:3]
	s_cbranch_scc1 .LBB2_13
.LBB2_7:                                ; =>This Loop Header: Depth=1
                                        ;     Child Loop BB2_8 Depth 2
                                        ;     Child Loop BB2_11 Depth 2
	s_and_b64 vcc, exec, s[0:1]
	v_mov_b32_e32 v2, v1
	s_waitcnt lgkmcnt(0)
	s_mov_b64 s[16:17], s[14:15]
	v_mov_b32_e32 v6, v0
	s_mov_b32 s22, s9
	s_cbranch_vccnz .LBB2_9
.LBB2_8:                                ;   Parent Loop BB2_7 Depth=1
                                        ; =>  This Inner Loop Header: Depth=2
	v_ashrrev_i32_e32 v3, 31, v2
	v_lshlrev_b64 v[7:8], 3, v[2:3]
	v_mov_b32_e32 v9, s13
	v_add_co_u32_e32 v7, vcc, s12, v7
	v_addc_co_u32_e32 v8, vcc, v9, v8, vcc
	global_load_dwordx2 v[7:8], v[7:8], off
	s_load_dwordx2 s[24:25], s[16:17], 0x0
	s_add_i32 s22, s22, -1
	s_add_u32 s16, s16, s6
	s_addc_u32 s17, s17, s7
	v_add_u32_e32 v2, s8, v2
	s_cmp_lg_u32 s22, 0
	s_waitcnt vmcnt(0) lgkmcnt(0)
	v_add_f64 v[7:8], v[7:8], s[24:25]
	ds_write_b64 v6, v[7:8]
	v_add_u32_e32 v6, s21, v6
	s_cbranch_scc1 .LBB2_8
.LBB2_9:                                ;   in Loop: Header=BB2_7 Depth=1
	s_and_b64 vcc, exec, s[2:3]
	v_mov_b32_e32 v2, s20
	s_cbranch_vccnz .LBB2_6
; %bb.10:                               ;   in Loop: Header=BB2_7 Depth=1
	ds_read_b64 v[2:3], v5
	s_mov_b32 s16, 0
	v_mov_b32_e32 v6, s19
	v_mov_b32_e32 v7, v0
.LBB2_11:                               ;   Parent Loop BB2_7 Depth=1
                                        ; =>  This Inner Loop Header: Depth=2
	ds_read_b64 v[8:9], v7
	v_mov_b32_e32 v10, s16
	s_add_i32 s16, s16, 1
	v_add_u32_e32 v7, s21, v7
	s_cmp_lg_u32 s19, s16
	s_waitcnt lgkmcnt(0)
	v_cmp_gt_f64_e32 vcc, v[8:9], v[2:3]
	v_cndmask_b32_e32 v3, v3, v9, vcc
	v_cndmask_b32_e32 v2, v2, v8, vcc
	;; [unrolled: 1-line block ×3, first 2 shown]
	s_cbranch_scc1 .LBB2_11
; %bb.12:                               ;   in Loop: Header=BB2_7 Depth=1
	v_mul_lo_u32 v2, v6, s18
	s_branch .LBB2_6
.LBB2_13:
	s_and_b64 vcc, exec, s[0:1]
	s_cbranch_vccnz .LBB2_18
; %bb.14:
	s_load_dwordx2 s[0:1], s[4:5], 0x10
	v_cvt_f64_i32_e32 v[2:3], s10
	s_lshl_b32 s2, s18, 3
	v_mov_b32_e32 v0, v4
	s_mov_b32 s3, s9
.LBB2_15:                               ; =>This Inner Loop Header: Depth=1
	ds_read_b64 v[5:6], v0
	s_add_i32 s3, s3, -1
	s_cmp_lg_u32 s3, 0
	s_waitcnt lgkmcnt(0)
	v_div_scale_f64 v[7:8], s[4:5], v[2:3], v[2:3], v[5:6]
	v_rcp_f64_e32 v[9:10], v[7:8]
	v_fma_f64 v[11:12], -v[7:8], v[9:10], 1.0
	v_fma_f64 v[9:10], v[9:10], v[11:12], v[9:10]
	v_div_scale_f64 v[11:12], vcc, v[5:6], v[2:3], v[5:6]
	v_fma_f64 v[13:14], -v[7:8], v[9:10], 1.0
	v_fma_f64 v[9:10], v[9:10], v[13:14], v[9:10]
	v_mul_f64 v[13:14], v[11:12], v[9:10]
	v_fma_f64 v[7:8], -v[7:8], v[13:14], v[11:12]
	v_div_fmas_f64 v[7:8], v[7:8], v[9:10], v[13:14]
	v_div_fixup_f64 v[5:6], v[7:8], v[2:3], v[5:6]
	ds_write_b64 v0, v[5:6]
	v_add_u32_e32 v0, s2, v0
	s_cbranch_scc1 .LBB2_15
; %bb.16:
	v_mov_b32_e32 v0, s1
.LBB2_17:                               ; =>This Inner Loop Header: Depth=1
	ds_read_b64 v[5:6], v4
	v_ashrrev_i32_e32 v2, 31, v1
	v_lshlrev_b64 v[2:3], 3, v[1:2]
	s_add_i32 s9, s9, -1
	v_add_co_u32_e32 v2, vcc, s0, v2
	v_add_u32_e32 v4, s2, v4
	v_add_u32_e32 v1, s8, v1
	s_cmp_lg_u32 s9, 0
	v_addc_co_u32_e32 v3, vcc, v0, v3, vcc
	s_waitcnt lgkmcnt(0)
	global_store_dwordx2 v[2:3], v[5:6], off
	s_cbranch_scc1 .LBB2_17
.LBB2_18:
	s_endpgm
	.section	.rodata,"a",@progbits
	.p2align	6, 0x0
	.amdhsa_kernel _Z35compute_probs_unitStrides_sharedMemPKdS0_Pdiii
		.amdhsa_group_segment_fixed_size 0
		.amdhsa_private_segment_fixed_size 0
		.amdhsa_kernarg_size 296
		.amdhsa_user_sgpr_count 6
		.amdhsa_user_sgpr_private_segment_buffer 1
		.amdhsa_user_sgpr_dispatch_ptr 0
		.amdhsa_user_sgpr_queue_ptr 0
		.amdhsa_user_sgpr_kernarg_segment_ptr 1
		.amdhsa_user_sgpr_dispatch_id 0
		.amdhsa_user_sgpr_flat_scratch_init 0
		.amdhsa_user_sgpr_private_segment_size 0
		.amdhsa_uses_dynamic_stack 0
		.amdhsa_system_sgpr_private_segment_wavefront_offset 0
		.amdhsa_system_sgpr_workgroup_id_x 1
		.amdhsa_system_sgpr_workgroup_id_y 0
		.amdhsa_system_sgpr_workgroup_id_z 0
		.amdhsa_system_sgpr_workgroup_info 0
		.amdhsa_system_vgpr_workitem_id 0
		.amdhsa_next_free_vgpr 15
		.amdhsa_next_free_sgpr 26
		.amdhsa_reserve_vcc 1
		.amdhsa_reserve_flat_scratch 0
		.amdhsa_float_round_mode_32 0
		.amdhsa_float_round_mode_16_64 0
		.amdhsa_float_denorm_mode_32 3
		.amdhsa_float_denorm_mode_16_64 3
		.amdhsa_dx10_clamp 1
		.amdhsa_ieee_mode 1
		.amdhsa_fp16_overflow 0
		.amdhsa_exception_fp_ieee_invalid_op 0
		.amdhsa_exception_fp_denorm_src 0
		.amdhsa_exception_fp_ieee_div_zero 0
		.amdhsa_exception_fp_ieee_overflow 0
		.amdhsa_exception_fp_ieee_underflow 0
		.amdhsa_exception_fp_ieee_inexact 0
		.amdhsa_exception_int_div_zero 0
	.end_amdhsa_kernel
	.text
.Lfunc_end2:
	.size	_Z35compute_probs_unitStrides_sharedMemPKdS0_Pdiii, .Lfunc_end2-_Z35compute_probs_unitStrides_sharedMemPKdS0_Pdiii
                                        ; -- End function
	.set _Z35compute_probs_unitStrides_sharedMemPKdS0_Pdiii.num_vgpr, 15
	.set _Z35compute_probs_unitStrides_sharedMemPKdS0_Pdiii.num_agpr, 0
	.set _Z35compute_probs_unitStrides_sharedMemPKdS0_Pdiii.numbered_sgpr, 26
	.set _Z35compute_probs_unitStrides_sharedMemPKdS0_Pdiii.num_named_barrier, 0
	.set _Z35compute_probs_unitStrides_sharedMemPKdS0_Pdiii.private_seg_size, 0
	.set _Z35compute_probs_unitStrides_sharedMemPKdS0_Pdiii.uses_vcc, 1
	.set _Z35compute_probs_unitStrides_sharedMemPKdS0_Pdiii.uses_flat_scratch, 0
	.set _Z35compute_probs_unitStrides_sharedMemPKdS0_Pdiii.has_dyn_sized_stack, 0
	.set _Z35compute_probs_unitStrides_sharedMemPKdS0_Pdiii.has_recursion, 0
	.set _Z35compute_probs_unitStrides_sharedMemPKdS0_Pdiii.has_indirect_call, 0
	.section	.AMDGPU.csdata,"",@progbits
; Kernel info:
; codeLenInByte = 708
; TotalNumSgprs: 30
; NumVgprs: 15
; ScratchSize: 0
; MemoryBound: 0
; FloatMode: 240
; IeeeMode: 1
; LDSByteSize: 0 bytes/workgroup (compile time only)
; SGPRBlocks: 3
; VGPRBlocks: 3
; NumSGPRsForWavesPerEU: 30
; NumVGPRsForWavesPerEU: 15
; Occupancy: 10
; WaveLimiterHint : 0
; COMPUTE_PGM_RSRC2:SCRATCH_EN: 0
; COMPUTE_PGM_RSRC2:USER_SGPR: 6
; COMPUTE_PGM_RSRC2:TRAP_HANDLER: 0
; COMPUTE_PGM_RSRC2:TGID_X_EN: 1
; COMPUTE_PGM_RSRC2:TGID_Y_EN: 0
; COMPUTE_PGM_RSRC2:TGID_Z_EN: 0
; COMPUTE_PGM_RSRC2:TIDIG_COMP_CNT: 0
	.section	.AMDGPU.gpr_maximums,"",@progbits
	.set amdgpu.max_num_vgpr, 0
	.set amdgpu.max_num_agpr, 0
	.set amdgpu.max_num_sgpr, 0
	.section	.AMDGPU.csdata,"",@progbits
	.type	__hip_cuid_bcc52b865a09ed21,@object ; @__hip_cuid_bcc52b865a09ed21
	.section	.bss,"aw",@nobits
	.globl	__hip_cuid_bcc52b865a09ed21
__hip_cuid_bcc52b865a09ed21:
	.byte	0                               ; 0x0
	.size	__hip_cuid_bcc52b865a09ed21, 1

	.ident	"AMD clang version 22.0.0git (https://github.com/RadeonOpenCompute/llvm-project roc-7.2.4 26084 f58b06dce1f9c15707c5f808fd002e18c2accf7e)"
	.section	".note.GNU-stack","",@progbits
	.addrsig
	.addrsig_sym __hip_cuid_bcc52b865a09ed21
	.amdgpu_metadata
---
amdhsa.kernels:
  - .args:
      - .actual_access:  read_only
        .address_space:  global
        .offset:         0
        .size:           8
        .value_kind:     global_buffer
      - .actual_access:  read_only
        .address_space:  global
        .offset:         8
        .size:           8
        .value_kind:     global_buffer
      - .address_space:  global
        .offset:         16
        .size:           8
        .value_kind:     global_buffer
      - .offset:         24
        .size:           4
        .value_kind:     by_value
      - .offset:         28
        .size:           4
        .value_kind:     by_value
      - .offset:         32
        .size:           4
        .value_kind:     by_value
      - .offset:         40
        .size:           4
        .value_kind:     hidden_block_count_x
      - .offset:         44
        .size:           4
        .value_kind:     hidden_block_count_y
      - .offset:         48
        .size:           4
        .value_kind:     hidden_block_count_z
      - .offset:         52
        .size:           2
        .value_kind:     hidden_group_size_x
      - .offset:         54
        .size:           2
        .value_kind:     hidden_group_size_y
      - .offset:         56
        .size:           2
        .value_kind:     hidden_group_size_z
      - .offset:         58
        .size:           2
        .value_kind:     hidden_remainder_x
      - .offset:         60
        .size:           2
        .value_kind:     hidden_remainder_y
      - .offset:         62
        .size:           2
        .value_kind:     hidden_remainder_z
      - .offset:         80
        .size:           8
        .value_kind:     hidden_global_offset_x
      - .offset:         88
        .size:           8
        .value_kind:     hidden_global_offset_y
      - .offset:         96
        .size:           8
        .value_kind:     hidden_global_offset_z
      - .offset:         104
        .size:           2
        .value_kind:     hidden_grid_dims
    .group_segment_fixed_size: 0
    .kernarg_segment_align: 8
    .kernarg_segment_size: 296
    .language:       OpenCL C
    .language_version:
      - 2
      - 0
    .max_flat_workgroup_size: 1024
    .name:           _Z13compute_probsPKdS0_Pdiii
    .private_segment_fixed_size: 176
    .sgpr_count:     28
    .sgpr_spill_count: 0
    .symbol:         _Z13compute_probsPKdS0_Pdiii.kd
    .uniform_work_group_size: 1
    .uses_dynamic_stack: false
    .vgpr_count:     14
    .vgpr_spill_count: 0
    .wavefront_size: 64
  - .args:
      - .actual_access:  read_only
        .address_space:  global
        .offset:         0
        .size:           8
        .value_kind:     global_buffer
      - .actual_access:  read_only
        .address_space:  global
        .offset:         8
        .size:           8
        .value_kind:     global_buffer
      - .address_space:  global
        .offset:         16
        .size:           8
        .value_kind:     global_buffer
      - .offset:         24
        .size:           4
        .value_kind:     by_value
      - .offset:         28
        .size:           4
        .value_kind:     by_value
      - .offset:         32
        .size:           4
        .value_kind:     by_value
      - .offset:         40
        .size:           4
        .value_kind:     hidden_block_count_x
      - .offset:         44
        .size:           4
        .value_kind:     hidden_block_count_y
      - .offset:         48
        .size:           4
        .value_kind:     hidden_block_count_z
      - .offset:         52
        .size:           2
        .value_kind:     hidden_group_size_x
      - .offset:         54
        .size:           2
        .value_kind:     hidden_group_size_y
      - .offset:         56
        .size:           2
        .value_kind:     hidden_group_size_z
      - .offset:         58
        .size:           2
        .value_kind:     hidden_remainder_x
      - .offset:         60
        .size:           2
        .value_kind:     hidden_remainder_y
      - .offset:         62
        .size:           2
        .value_kind:     hidden_remainder_z
      - .offset:         80
        .size:           8
        .value_kind:     hidden_global_offset_x
      - .offset:         88
        .size:           8
        .value_kind:     hidden_global_offset_y
      - .offset:         96
        .size:           8
        .value_kind:     hidden_global_offset_z
      - .offset:         104
        .size:           2
        .value_kind:     hidden_grid_dims
    .group_segment_fixed_size: 0
    .kernarg_segment_align: 8
    .kernarg_segment_size: 296
    .language:       OpenCL C
    .language_version:
      - 2
      - 0
    .max_flat_workgroup_size: 1024
    .name:           _Z25compute_probs_unitStridesPKdS0_Pdiii
    .private_segment_fixed_size: 176
    .sgpr_count:     32
    .sgpr_spill_count: 0
    .symbol:         _Z25compute_probs_unitStridesPKdS0_Pdiii.kd
    .uniform_work_group_size: 1
    .uses_dynamic_stack: false
    .vgpr_count:     17
    .vgpr_spill_count: 0
    .wavefront_size: 64
  - .args:
      - .actual_access:  read_only
        .address_space:  global
        .offset:         0
        .size:           8
        .value_kind:     global_buffer
      - .actual_access:  read_only
        .address_space:  global
        .offset:         8
        .size:           8
        .value_kind:     global_buffer
      - .actual_access:  write_only
        .address_space:  global
        .offset:         16
        .size:           8
        .value_kind:     global_buffer
      - .offset:         24
        .size:           4
        .value_kind:     by_value
      - .offset:         28
        .size:           4
        .value_kind:     by_value
      - .offset:         32
        .size:           4
        .value_kind:     by_value
      - .offset:         40
        .size:           4
        .value_kind:     hidden_block_count_x
      - .offset:         44
        .size:           4
        .value_kind:     hidden_block_count_y
      - .offset:         48
        .size:           4
        .value_kind:     hidden_block_count_z
      - .offset:         52
        .size:           2
        .value_kind:     hidden_group_size_x
      - .offset:         54
        .size:           2
        .value_kind:     hidden_group_size_y
      - .offset:         56
        .size:           2
        .value_kind:     hidden_group_size_z
      - .offset:         58
        .size:           2
        .value_kind:     hidden_remainder_x
      - .offset:         60
        .size:           2
        .value_kind:     hidden_remainder_y
      - .offset:         62
        .size:           2
        .value_kind:     hidden_remainder_z
      - .offset:         80
        .size:           8
        .value_kind:     hidden_global_offset_x
      - .offset:         88
        .size:           8
        .value_kind:     hidden_global_offset_y
      - .offset:         96
        .size:           8
        .value_kind:     hidden_global_offset_z
      - .offset:         104
        .size:           2
        .value_kind:     hidden_grid_dims
      - .offset:         160
        .size:           4
        .value_kind:     hidden_dynamic_lds_size
    .group_segment_fixed_size: 0
    .kernarg_segment_align: 8
    .kernarg_segment_size: 296
    .language:       OpenCL C
    .language_version:
      - 2
      - 0
    .max_flat_workgroup_size: 1024
    .name:           _Z35compute_probs_unitStrides_sharedMemPKdS0_Pdiii
    .private_segment_fixed_size: 0
    .sgpr_count:     30
    .sgpr_spill_count: 0
    .symbol:         _Z35compute_probs_unitStrides_sharedMemPKdS0_Pdiii.kd
    .uniform_work_group_size: 1
    .uses_dynamic_stack: false
    .vgpr_count:     15
    .vgpr_spill_count: 0
    .wavefront_size: 64
amdhsa.target:   amdgcn-amd-amdhsa--gfx906
amdhsa.version:
  - 1
  - 2
...

	.end_amdgpu_metadata
